;; amdgpu-corpus repo=ROCm/rocFFT kind=compiled arch=gfx1201 opt=O3
	.text
	.amdgcn_target "amdgcn-amd-amdhsa--gfx1201"
	.amdhsa_code_object_version 6
	.protected	fft_rtc_fwd_len280_factors_2_2_7_5_2_wgs_252_tpt_28_dim3_sp_ip_CI_sbcc_twdbase8_3step_dirReg_intrinsicReadWrite ; -- Begin function fft_rtc_fwd_len280_factors_2_2_7_5_2_wgs_252_tpt_28_dim3_sp_ip_CI_sbcc_twdbase8_3step_dirReg_intrinsicReadWrite
	.globl	fft_rtc_fwd_len280_factors_2_2_7_5_2_wgs_252_tpt_28_dim3_sp_ip_CI_sbcc_twdbase8_3step_dirReg_intrinsicReadWrite
	.p2align	8
	.type	fft_rtc_fwd_len280_factors_2_2_7_5_2_wgs_252_tpt_28_dim3_sp_ip_CI_sbcc_twdbase8_3step_dirReg_intrinsicReadWrite,@function
fft_rtc_fwd_len280_factors_2_2_7_5_2_wgs_252_tpt_28_dim3_sp_ip_CI_sbcc_twdbase8_3step_dirReg_intrinsicReadWrite: ; @fft_rtc_fwd_len280_factors_2_2_7_5_2_wgs_252_tpt_28_dim3_sp_ip_CI_sbcc_twdbase8_3step_dirReg_intrinsicReadWrite
; %bb.0:
	s_load_b128 s[8:11], s[0:1], 0x10
	s_mov_b32 s15, 0
	s_mov_b32 s2, 0x71c4fc00
	s_movk_i32 s3, 0x7c
	s_mov_b32 s14, s15
	s_delay_alu instid0(SALU_CYCLE_1) | instskip(NEXT) | instid1(SALU_CYCLE_1)
	s_add_nc_u64 s[2:3], s[14:15], s[2:3]
	s_add_co_i32 s3, s3, 0x1c71c6a0
	s_delay_alu instid0(SALU_CYCLE_1) | instskip(NEXT) | instid1(SALU_CYCLE_1)
	s_mul_u64 s[4:5], s[2:3], -9
	s_mul_hi_u32 s7, s2, s5
	s_mul_i32 s6, s2, s5
	s_mul_hi_u32 s14, s2, s4
	s_mul_i32 s17, s3, s4
	s_add_nc_u64 s[6:7], s[14:15], s[6:7]
	s_mul_hi_u32 s16, s3, s4
	s_mul_hi_u32 s18, s3, s5
	s_mul_i32 s4, s3, s5
	s_wait_kmcnt 0x0
	s_load_b64 s[12:13], s[8:9], 0x8
	s_add_co_u32 s5, s6, s17
	s_add_co_ci_u32 s14, s7, s16
	s_add_co_ci_u32 s5, s18, 0
	s_mov_b64 s[18:19], 0
	s_add_nc_u64 s[4:5], s[14:15], s[4:5]
	s_delay_alu instid0(SALU_CYCLE_1) | instskip(NEXT) | instid1(VALU_DEP_1)
	v_add_co_u32 v1, s2, s2, s4
	s_cmp_lg_u32 s2, 0
	s_add_co_ci_u32 s6, s3, s5
	s_delay_alu instid0(VALU_DEP_1)
	v_readfirstlane_b32 s7, v1
	s_wait_kmcnt 0x0
	s_add_nc_u64 s[2:3], s[12:13], -1
	s_wait_alu 0xfffe
	s_mul_hi_u32 s5, s2, s6
	s_mul_i32 s4, s2, s6
	s_mul_hi_u32 s14, s2, s7
	s_mul_hi_u32 s17, s3, s7
	s_mul_i32 s7, s3, s7
	s_wait_alu 0xfffe
	s_add_nc_u64 s[4:5], s[14:15], s[4:5]
	s_mul_hi_u32 s16, s3, s6
	s_wait_alu 0xfffe
	s_add_co_u32 s4, s4, s7
	s_add_co_ci_u32 s14, s5, s17
	s_mul_i32 s6, s3, s6
	s_add_co_ci_u32 s7, s16, 0
	s_delay_alu instid0(SALU_CYCLE_1) | instskip(SKIP_2) | instid1(SALU_CYCLE_1)
	s_add_nc_u64 s[4:5], s[14:15], s[6:7]
	s_wait_alu 0xfffe
	s_mul_u64 s[6:7], s[4:5], 9
	v_sub_co_u32 v1, s2, s2, s6
	s_delay_alu instid0(VALU_DEP_1) | instskip(SKIP_1) | instid1(VALU_DEP_1)
	s_cmp_lg_u32 s2, 0
	s_sub_co_ci_u32 s14, s3, s7
	v_sub_co_u32 v2, s6, v1, 9
	s_delay_alu instid0(VALU_DEP_1) | instskip(SKIP_2) | instid1(VALU_DEP_2)
	s_cmp_lg_u32 s6, 0
	v_readfirstlane_b32 s17, v1
	s_sub_co_ci_u32 s6, s14, 0
	v_readfirstlane_b32 s2, v2
	s_delay_alu instid0(VALU_DEP_1)
	s_cmp_gt_u32 s2, 8
	s_add_nc_u64 s[2:3], s[4:5], 1
	s_cselect_b32 s16, -1, 0
	s_wait_alu 0xfffe
	s_cmp_eq_u32 s6, 0
	s_add_nc_u64 s[6:7], s[4:5], 2
	s_cselect_b32 s16, s16, -1
	s_delay_alu instid0(SALU_CYCLE_1)
	s_cmp_lg_u32 s16, 0
	s_wait_alu 0xfffe
	s_cselect_b32 s2, s6, s2
	s_cselect_b32 s3, s7, s3
	s_cmp_gt_u32 s17, 8
	s_cselect_b32 s6, -1, 0
	s_cmp_eq_u32 s14, 0
	s_mov_b32 s14, ttmp9
	s_wait_alu 0xfffe
	s_cselect_b32 s6, s6, -1
	s_wait_alu 0xfffe
	s_cmp_lg_u32 s6, 0
	s_cselect_b32 s3, s3, s5
	s_cselect_b32 s2, s2, s4
	s_wait_alu 0xfffe
	s_add_nc_u64 s[16:17], s[2:3], 1
	s_delay_alu instid0(SALU_CYCLE_1) | instskip(NEXT) | instid1(VALU_DEP_1)
	v_cmp_lt_u64_e64 s2, s[14:15], s[16:17]
	s_and_b32 vcc_lo, exec_lo, s2
	s_cbranch_vccnz .LBB0_2
; %bb.1:
	v_cvt_f32_u32_e32 v1, s16
	s_sub_co_i32 s3, 0, s16
	s_mov_b32 s19, s15
	s_delay_alu instid0(VALU_DEP_1) | instskip(NEXT) | instid1(TRANS32_DEP_1)
	v_rcp_iflag_f32_e32 v1, v1
	v_mul_f32_e32 v1, 0x4f7ffffe, v1
	s_delay_alu instid0(VALU_DEP_1) | instskip(NEXT) | instid1(VALU_DEP_1)
	v_cvt_u32_f32_e32 v1, v1
	v_readfirstlane_b32 s2, v1
	s_wait_alu 0xfffe
	s_delay_alu instid0(VALU_DEP_1)
	s_mul_i32 s3, s3, s2
	s_wait_alu 0xfffe
	s_mul_hi_u32 s3, s2, s3
	s_wait_alu 0xfffe
	s_add_co_i32 s2, s2, s3
	s_wait_alu 0xfffe
	s_mul_hi_u32 s2, s14, s2
	s_wait_alu 0xfffe
	s_mul_i32 s3, s2, s16
	s_add_co_i32 s4, s2, 1
	s_wait_alu 0xfffe
	s_sub_co_i32 s3, s14, s3
	s_wait_alu 0xfffe
	s_sub_co_i32 s5, s3, s16
	s_cmp_ge_u32 s3, s16
	s_cselect_b32 s2, s4, s2
	s_wait_alu 0xfffe
	s_cselect_b32 s3, s5, s3
	s_add_co_i32 s4, s2, 1
	s_wait_alu 0xfffe
	s_cmp_ge_u32 s3, s16
	s_cselect_b32 s18, s4, s2
.LBB0_2:
	s_load_b64 s[20:21], s[8:9], 0x10
	s_load_b128 s[4:7], s[10:11], 0x0
	s_mov_b64 s[8:9], s[18:19]
	s_wait_kmcnt 0x0
	v_cmp_lt_u64_e64 s2, s[18:19], s[20:21]
	s_delay_alu instid0(VALU_DEP_1)
	s_and_b32 vcc_lo, exec_lo, s2
	s_cbranch_vccnz .LBB0_4
; %bb.3:
	v_cvt_f32_u32_e32 v1, s20
	s_sub_co_i32 s3, 0, s20
	s_mov_b32 s9, 0
	s_delay_alu instid0(VALU_DEP_1) | instskip(NEXT) | instid1(TRANS32_DEP_1)
	v_rcp_iflag_f32_e32 v1, v1
	v_mul_f32_e32 v1, 0x4f7ffffe, v1
	s_delay_alu instid0(VALU_DEP_1) | instskip(NEXT) | instid1(VALU_DEP_1)
	v_cvt_u32_f32_e32 v1, v1
	v_readfirstlane_b32 s2, v1
	s_wait_alu 0xfffe
	s_delay_alu instid0(VALU_DEP_1)
	s_mul_i32 s3, s3, s2
	s_wait_alu 0xfffe
	s_mul_hi_u32 s3, s2, s3
	s_wait_alu 0xfffe
	s_add_co_i32 s2, s2, s3
	s_wait_alu 0xfffe
	s_mul_hi_u32 s2, s18, s2
	s_wait_alu 0xfffe
	s_mul_i32 s2, s2, s20
	s_wait_alu 0xfffe
	s_sub_co_i32 s2, s18, s2
	s_wait_alu 0xfffe
	s_sub_co_i32 s3, s2, s20
	s_cmp_ge_u32 s2, s20
	s_wait_alu 0xfffe
	s_cselect_b32 s2, s3, s2
	s_wait_alu 0xfffe
	s_sub_co_i32 s3, s2, s20
	s_cmp_ge_u32 s2, s20
	s_wait_alu 0xfffe
	s_cselect_b32 s8, s3, s2
.LBB0_4:
	s_load_b64 s[2:3], s[0:1], 0x50
	s_load_b64 s[22:23], s[10:11], 0x10
	s_mul_u64 s[24:25], s[20:21], s[16:17]
	s_delay_alu instid0(SALU_CYCLE_1) | instskip(NEXT) | instid1(VALU_DEP_1)
	v_cmp_lt_u64_e64 s20, s[14:15], s[24:25]
	s_and_b32 vcc_lo, exec_lo, s20
	s_mov_b64 s[20:21], 0
	s_cbranch_vccnz .LBB0_6
; %bb.5:
	v_cvt_f32_u32_e32 v1, s24
	s_sub_co_i32 s21, 0, s24
	s_delay_alu instid0(VALU_DEP_1) | instskip(NEXT) | instid1(TRANS32_DEP_1)
	v_rcp_iflag_f32_e32 v1, v1
	v_mul_f32_e32 v1, 0x4f7ffffe, v1
	s_delay_alu instid0(VALU_DEP_1) | instskip(NEXT) | instid1(VALU_DEP_1)
	v_cvt_u32_f32_e32 v1, v1
	v_readfirstlane_b32 s20, v1
	s_wait_alu 0xfffe
	s_delay_alu instid0(VALU_DEP_1)
	s_mul_i32 s21, s21, s20
	s_wait_alu 0xfffe
	s_mul_hi_u32 s21, s20, s21
	s_wait_alu 0xfffe
	s_add_co_i32 s20, s20, s21
	s_wait_alu 0xfffe
	s_mul_hi_u32 s20, s14, s20
	s_wait_alu 0xfffe
	s_mul_i32 s21, s20, s24
	s_add_co_i32 s25, s20, 1
	s_wait_alu 0xfffe
	s_sub_co_i32 s21, s14, s21
	s_wait_alu 0xfffe
	s_sub_co_i32 s26, s21, s24
	s_cmp_ge_u32 s21, s24
	s_cselect_b32 s20, s25, s20
	s_cselect_b32 s21, s26, s21
	s_wait_alu 0xfffe
	s_add_co_i32 s25, s20, 1
	s_cmp_ge_u32 s21, s24
	s_mov_b32 s21, 0
	s_wait_alu 0xfffe
	s_cselect_b32 s20, s25, s20
.LBB0_6:
	v_mul_u32_u24_e32 v1, 0x1c72, v0
	s_load_b64 s[10:11], s[10:11], 0x18
	s_mul_u64 s[16:17], s[18:19], s[16:17]
	s_wait_kmcnt 0x0
	s_mul_u64 s[8:9], s[22:23], s[8:9]
	s_wait_alu 0xfffe
	s_sub_nc_u64 s[14:15], s[14:15], s[16:17]
	v_lshrrev_b32_e32 v50, 16, v1
	s_wait_alu 0xfffe
	s_mul_u64 s[14:15], s[14:15], 9
	s_wait_alu 0xfffe
	s_mul_u64 s[16:17], s[6:7], s[14:15]
	s_add_nc_u64 s[18:19], s[14:15], 9
	v_mul_lo_u16 v1, v50, 9
	v_mad_co_u64_u32 v[3:4], null, s4, v50, 0
	v_mov_b32_e32 v2, 0
	s_wait_alu 0xfffe
	s_add_nc_u64 s[8:9], s[8:9], s[16:17]
	v_sub_nc_u16 v1, v0, v1
	v_mov_b32_e32 v15, 0
	v_cmp_le_u64_e64 s16, s[18:19], s[12:13]
	s_delay_alu instid0(VALU_DEP_3) | instskip(SKIP_1) | instid1(VALU_DEP_1)
	v_dual_mov_b32 v1, v4 :: v_dual_and_b32 v12, 0xffff, v1
	s_mul_u64 s[10:11], s[10:11], s[20:21]
	v_mad_co_u64_u32 v[13:14], null, s6, v12, 0
	v_add_co_u32 v18, s6, s14, v12
	s_wait_alu 0xf1ff
	v_add_co_ci_u32_e64 v19, null, s15, 0, s6
	s_delay_alu instid0(VALU_DEP_3) | instskip(NEXT) | instid1(VALU_DEP_4)
	v_mov_b32_e32 v4, v14
	v_add_co_u32 v3, null, v13, v3
	s_delay_alu instid0(VALU_DEP_3) | instskip(NEXT) | instid1(VALU_DEP_3)
	v_cmp_gt_u64_e32 vcc_lo, s[12:13], v[18:19]
	v_mad_co_u64_u32 v[4:5], null, s7, v12, v[4:5]
	s_add_nc_u64 s[6:7], s[10:11], s[8:9]
	v_mad_co_u64_u32 v[5:6], null, s5, v50, v[1:2]
	s_wait_alu 0xfffe
	v_dual_mov_b32 v1, 0 :: v_dual_add_nc_u32 v16, s6, v3
	s_or_b32 s7, s16, vcc_lo
	s_delay_alu instid0(VALU_DEP_3)
	v_mov_b32_e32 v14, v4
	s_wait_alu 0xfffe
	s_and_saveexec_b32 s8, s7
	s_cbranch_execz .LBB0_8
; %bb.7:
	v_mov_b32_e32 v17, 0
	s_delay_alu instid0(VALU_DEP_1) | instskip(NEXT) | instid1(VALU_DEP_1)
	v_lshlrev_b64_e32 v[1:2], 3, v[16:17]
	v_add_co_u32 v1, vcc_lo, s2, v1
	s_delay_alu instid0(VALU_DEP_2)
	v_add_co_ci_u32_e32 v2, vcc_lo, s3, v2, vcc_lo
	global_load_b64 v[1:2], v[1:2], off
.LBB0_8:
	s_or_b32 exec_lo, exec_lo, s8
	v_and_b32_e32 v17, 0xffff, v50
	s_delay_alu instid0(VALU_DEP_1) | instskip(NEXT) | instid1(VALU_DEP_1)
	v_add_nc_u32_e32 v52, 0x8c, v17
	v_mad_co_u64_u32 v[3:4], null, s4, v52, v[13:14]
	s_delay_alu instid0(VALU_DEP_1) | instskip(NEXT) | instid1(VALU_DEP_2)
	v_dual_mov_b32 v3, 0 :: v_dual_add_nc_u32 v14, s6, v3
	v_mad_co_u64_u32 v[4:5], null, s5, v52, v[4:5]
	s_and_saveexec_b32 s5, s7
	s_cbranch_execz .LBB0_10
; %bb.9:
	s_delay_alu instid0(VALU_DEP_2) | instskip(NEXT) | instid1(VALU_DEP_1)
	v_lshlrev_b64_e32 v[3:4], 3, v[14:15]
	v_add_co_u32 v3, vcc_lo, s2, v3
	s_wait_alu 0xfffd
	s_delay_alu instid0(VALU_DEP_2)
	v_add_co_ci_u32_e32 v4, vcc_lo, s3, v4, vcc_lo
	global_load_b64 v[3:4], v[3:4], off
	s_wait_loadcnt 0x0
	v_mov_b32_e32 v15, v4
.LBB0_10:
	s_wait_alu 0xfffe
	s_or_b32 exec_lo, exec_lo, s5
	v_dual_mov_b32 v4, 0 :: v_dual_add_nc_u32 v47, 28, v17
	v_mov_b32_e32 v7, 0
	v_mov_b32_e32 v5, 0
	s_and_saveexec_b32 s5, s7
	s_cbranch_execz .LBB0_12
; %bb.11:
	v_mul_lo_u32 v4, s4, v47
	v_mov_b32_e32 v5, 0
	s_delay_alu instid0(VALU_DEP_2) | instskip(NEXT) | instid1(VALU_DEP_1)
	v_add3_u32 v4, s6, v13, v4
	v_lshlrev_b64_e32 v[4:5], 3, v[4:5]
	s_delay_alu instid0(VALU_DEP_1) | instskip(SKIP_1) | instid1(VALU_DEP_2)
	v_add_co_u32 v4, vcc_lo, s2, v4
	s_wait_alu 0xfffd
	v_add_co_ci_u32_e32 v5, vcc_lo, s3, v5, vcc_lo
	global_load_b64 v[4:5], v[4:5], off
.LBB0_12:
	s_wait_alu 0xfffe
	s_or_b32 exec_lo, exec_lo, s5
	v_mov_b32_e32 v6, 0
	s_and_saveexec_b32 s5, s7
	s_cbranch_execz .LBB0_14
; %bb.13:
	v_dual_mov_b32 v7, 0 :: v_dual_add_nc_u32 v6, 0xa8, v17
	s_delay_alu instid0(VALU_DEP_1) | instskip(NEXT) | instid1(VALU_DEP_1)
	v_mul_lo_u32 v6, s4, v6
	v_add3_u32 v6, s6, v13, v6
	s_delay_alu instid0(VALU_DEP_1) | instskip(NEXT) | instid1(VALU_DEP_1)
	v_lshlrev_b64_e32 v[6:7], 3, v[6:7]
	v_add_co_u32 v6, vcc_lo, s2, v6
	s_wait_alu 0xfffd
	s_delay_alu instid0(VALU_DEP_2)
	v_add_co_ci_u32_e32 v7, vcc_lo, s3, v7, vcc_lo
	global_load_b64 v[6:7], v[6:7], off
.LBB0_14:
	s_wait_alu 0xfffe
	s_or_b32 exec_lo, exec_lo, s5
	v_dual_mov_b32 v11, 0 :: v_dual_add_nc_u32 v48, 56, v17
	v_dual_mov_b32 v9, 0 :: v_dual_mov_b32 v8, 0
	s_and_saveexec_b32 s5, s7
	s_cbranch_execz .LBB0_16
; %bb.15:
	s_delay_alu instid0(VALU_DEP_2) | instskip(SKIP_1) | instid1(VALU_DEP_2)
	v_mul_lo_u32 v8, s4, v48
	v_mov_b32_e32 v9, 0
	v_add3_u32 v8, s6, v13, v8
	s_delay_alu instid0(VALU_DEP_1) | instskip(NEXT) | instid1(VALU_DEP_1)
	v_lshlrev_b64_e32 v[8:9], 3, v[8:9]
	v_add_co_u32 v8, vcc_lo, s2, v8
	s_wait_alu 0xfffd
	s_delay_alu instid0(VALU_DEP_2)
	v_add_co_ci_u32_e32 v9, vcc_lo, s3, v9, vcc_lo
	global_load_b64 v[8:9], v[8:9], off
.LBB0_16:
	s_wait_alu 0xfffe
	s_or_b32 exec_lo, exec_lo, s5
	v_mov_b32_e32 v10, 0
	s_and_saveexec_b32 s5, s7
	s_cbranch_execz .LBB0_18
; %bb.17:
	v_dual_mov_b32 v11, 0 :: v_dual_add_nc_u32 v10, 0xc4, v17
	s_delay_alu instid0(VALU_DEP_1) | instskip(NEXT) | instid1(VALU_DEP_1)
	v_mul_lo_u32 v10, s4, v10
	v_add3_u32 v10, s6, v13, v10
	s_delay_alu instid0(VALU_DEP_1) | instskip(NEXT) | instid1(VALU_DEP_1)
	v_lshlrev_b64_e32 v[10:11], 3, v[10:11]
	v_add_co_u32 v10, vcc_lo, s2, v10
	s_wait_alu 0xfffd
	s_delay_alu instid0(VALU_DEP_2)
	v_add_co_ci_u32_e32 v11, vcc_lo, s3, v11, vcc_lo
	global_load_b64 v[10:11], v[10:11], off
.LBB0_18:
	s_wait_alu 0xfffe
	s_or_b32 exec_lo, exec_lo, s5
	v_dual_mov_b32 v22, 0 :: v_dual_add_nc_u32 v49, 0x54, v17
	v_dual_mov_b32 v20, 0 :: v_dual_mov_b32 v19, 0
	s_and_saveexec_b32 s5, s7
	s_cbranch_execz .LBB0_20
; %bb.19:
	s_delay_alu instid0(VALU_DEP_2) | instskip(SKIP_1) | instid1(VALU_DEP_2)
	v_mul_lo_u32 v19, s4, v49
	v_mov_b32_e32 v20, 0
	v_add3_u32 v19, s6, v13, v19
	s_delay_alu instid0(VALU_DEP_1) | instskip(NEXT) | instid1(VALU_DEP_1)
	v_lshlrev_b64_e32 v[19:20], 3, v[19:20]
	v_add_co_u32 v19, vcc_lo, s2, v19
	s_wait_alu 0xfffd
	s_delay_alu instid0(VALU_DEP_2)
	v_add_co_ci_u32_e32 v20, vcc_lo, s3, v20, vcc_lo
	global_load_b64 v[19:20], v[19:20], off
.LBB0_20:
	s_wait_alu 0xfffe
	s_or_b32 exec_lo, exec_lo, s5
	v_mov_b32_e32 v21, 0
	s_and_saveexec_b32 s5, s7
	s_cbranch_execz .LBB0_22
; %bb.21:
	v_or_b32_e32 v21, 0xe0, v17
	v_mov_b32_e32 v22, 0
	s_delay_alu instid0(VALU_DEP_2) | instskip(NEXT) | instid1(VALU_DEP_1)
	v_mul_lo_u32 v21, s4, v21
	v_add3_u32 v21, s6, v13, v21
	s_delay_alu instid0(VALU_DEP_1) | instskip(NEXT) | instid1(VALU_DEP_1)
	v_lshlrev_b64_e32 v[21:22], 3, v[21:22]
	v_add_co_u32 v21, vcc_lo, s2, v21
	s_wait_alu 0xfffd
	s_delay_alu instid0(VALU_DEP_2)
	v_add_co_ci_u32_e32 v22, vcc_lo, s3, v22, vcc_lo
	global_load_b64 v[21:22], v[21:22], off
.LBB0_22:
	s_wait_alu 0xfffe
	s_or_b32 exec_lo, exec_lo, s5
	s_load_b64 s[8:9], s[0:1], 0x0
	v_dual_mov_b32 v26, 0 :: v_dual_add_nc_u32 v51, 0x70, v17
	v_dual_mov_b32 v24, 0 :: v_dual_mov_b32 v23, 0
	s_and_saveexec_b32 s5, s7
	s_cbranch_execz .LBB0_24
; %bb.23:
	s_delay_alu instid0(VALU_DEP_2) | instskip(SKIP_1) | instid1(VALU_DEP_2)
	v_mul_lo_u32 v23, s4, v51
	v_mov_b32_e32 v24, 0
	v_add3_u32 v23, s6, v13, v23
	s_delay_alu instid0(VALU_DEP_1) | instskip(NEXT) | instid1(VALU_DEP_1)
	v_lshlrev_b64_e32 v[23:24], 3, v[23:24]
	v_add_co_u32 v23, vcc_lo, s2, v23
	s_wait_alu 0xfffd
	s_delay_alu instid0(VALU_DEP_2)
	v_add_co_ci_u32_e32 v24, vcc_lo, s3, v24, vcc_lo
	global_load_b64 v[23:24], v[23:24], off
.LBB0_24:
	s_wait_alu 0xfffe
	s_or_b32 exec_lo, exec_lo, s5
	v_mov_b32_e32 v25, 0
	s_and_saveexec_b32 s5, s7
	s_cbranch_execz .LBB0_26
; %bb.25:
	v_dual_mov_b32 v26, 0 :: v_dual_add_nc_u32 v25, 0xfc, v17
	s_delay_alu instid0(VALU_DEP_1) | instskip(NEXT) | instid1(VALU_DEP_1)
	v_mul_lo_u32 v25, s4, v25
	v_add3_u32 v25, s6, v13, v25
	s_delay_alu instid0(VALU_DEP_1) | instskip(NEXT) | instid1(VALU_DEP_1)
	v_lshlrev_b64_e32 v[25:26], 3, v[25:26]
	v_add_co_u32 v25, vcc_lo, s2, v25
	s_wait_alu 0xfffd
	s_delay_alu instid0(VALU_DEP_2)
	v_add_co_ci_u32_e32 v26, vcc_lo, s3, v26, vcc_lo
	global_load_b64 v[25:26], v[25:26], off
.LBB0_26:
	s_wait_alu 0xfffe
	s_or_b32 exec_lo, exec_lo, s5
	s_wait_loadcnt 0x0
	v_dual_sub_f32 v27, v1, v3 :: v_dual_sub_f32 v6, v4, v6
	v_dual_sub_f32 v7, v5, v7 :: v_dual_sub_f32 v10, v8, v10
	v_dual_sub_f32 v28, v2, v15 :: v_dual_lshlrev_b32 v57, 3, v12
	s_delay_alu instid0(VALU_DEP_3) | instskip(NEXT) | instid1(VALU_DEP_3)
	v_fma_f32 v3, v4, 2.0, -v6
	v_fma_f32 v4, v5, 2.0, -v7
	v_mul_u32_u24_e32 v5, 0x90, v17
	v_fma_f32 v1, v1, 2.0, -v27
	v_fma_f32 v2, v2, 2.0, -v28
	v_dual_sub_f32 v11, v9, v11 :: v_dual_sub_f32 v12, v19, v21
	s_delay_alu instid0(VALU_DEP_4) | instskip(SKIP_3) | instid1(VALU_DEP_4)
	v_add3_u32 v5, 0, v5, v57
	v_sub_f32_e32 v15, v20, v22
	v_dual_sub_f32 v21, v23, v25 :: v_dual_sub_f32 v22, v24, v26
	v_fma_f32 v8, v8, 2.0, -v10
	v_add_nc_u32_e32 v25, 0xc00, v5
	v_fma_f32 v9, v9, 2.0, -v11
	v_fma_f32 v19, v19, 2.0, -v12
	v_add_nc_u32_e32 v26, 0x1800, v5
	v_fma_f32 v20, v20, 2.0, -v15
	ds_store_2addr_b64 v5, v[1:2], v[27:28] offset1:9
	ds_store_2addr_b64 v25, v[3:4], v[6:7] offset0:120 offset1:129
	v_and_b32_e32 v3, 1, v17
	v_add_nc_u32_e32 v1, 0x2c00, v5
	v_fma_f32 v23, v23, 2.0, -v21
	v_fma_f32 v24, v24, 2.0, -v22
	v_add_nc_u32_e32 v2, 0x3c00, v5
	ds_store_2addr_b64 v26, v[8:9], v[10:11] offset0:240 offset1:249
	ds_store_b64 v5, v[19:20] offset:12096
	ds_store_2addr_b32 v1, v12, v15 offset0:226 offset1:227
	ds_store_2addr_b32 v2, v23, v24 offset0:192 offset1:193
	;; [unrolled: 1-line block ×3, first 2 shown]
	v_lshlrev_b32_e32 v1, 3, v3
	global_wb scope:SCOPE_SE
	s_wait_dscnt 0x0
	s_wait_kmcnt 0x0
	s_barrier_signal -1
	s_barrier_wait -1
	global_inv scope:SCOPE_SE
	global_load_b64 v[9:10], v1, s[8:9]
	v_lshlrev_b32_e32 v1, 1, v17
	v_lshlrev_b32_e32 v2, 1, v47
	;; [unrolled: 1-line block ×5, first 2 shown]
	v_and_or_b32 v1, v1, 60, v3
	v_mad_i32_i24 v55, 0xffffffb8, v17, v5
	v_and_or_b32 v2, 0x7c, v2, v3
	v_and_or_b32 v4, 0xfc, v4, v3
	;; [unrolled: 1-line block ×4, first 2 shown]
	v_add_nc_u32_e32 v7, 0xfc0, v5
	v_add_nc_u32_e32 v8, 0x1f80, v5
	;; [unrolled: 1-line block ×3, first 2 shown]
	ds_load_b64 v[11:12], v55
	v_add_nc_u32_e32 v15, 0x2f40, v5
	v_mul_u32_u24_e32 v5, 0x48, v1
	v_add_nc_u32_e32 v1, 0x2760, v55
	v_mul_u32_u24_e32 v20, 0x48, v2
	v_mul_u32_u24_e32 v21, 0x48, v4
	v_mul_u32_u24_e32 v27, 0x48, v3
	v_mul_u32_u24_e32 v22, 0x48, v6
	ds_load_2addr_b64 v[1:4], v1 offset1:252
	v_mad_i32_i24 v56, 0xffffffb8, v47, v7
	v_add3_u32 v29, 0, v5, v57
	v_add3_u32 v30, 0, v20, v57
	;; [unrolled: 1-line block ×5, first 2 shown]
	v_cmp_gt_u32_e32 vcc_lo, 0x6c, v0
	s_wait_loadcnt_dscnt 0x0
	v_mul_f32_e32 v39, v10, v1
	v_mul_f32_e32 v41, v10, v3
	v_add_nc_u32_e32 v6, 0x3720, v55
	v_mul_f32_e32 v38, v10, v2
	s_delay_alu instid0(VALU_DEP_4) | instskip(NEXT) | instid1(VALU_DEP_4)
	v_dual_mul_f32 v40, v10, v4 :: v_dual_fmac_f32 v39, v9, v2
	v_fmac_f32_e32 v41, v9, v4
	v_mad_i32_i24 v53, 0xffffffb8, v48, v8
	ds_load_2addr_b64 v[5:8], v6 offset1:252
	v_fma_f32 v1, v9, v1, -v38
	v_sub_f32_e32 v2, v12, v39
	v_mad_i32_i24 v54, 0xffffffb8, v49, v15
	v_mad_i32_i24 v15, 0xffffffb8, v51, v19
	ds_load_b64 v[23:24], v53
	ds_load_b64 v[25:26], v56
	ds_load_b64 v[19:20], v55 offset:18144
	ds_load_b32 v34, v54
	ds_load_b64 v[21:22], v54
	ds_load_b32 v35, v54 offset:4
	ds_load_b32 v36, v15
	ds_load_b64 v[27:28], v15
	ds_load_b32 v37, v15 offset:4
	v_fma_f32 v3, v9, v3, -v40
	v_sub_f32_e32 v1, v11, v1
	global_wb scope:SCOPE_SE
	s_wait_dscnt 0x0
	s_barrier_signal -1
	s_barrier_wait -1
	global_inv scope:SCOPE_SE
	v_mul_f32_e32 v42, v10, v6
	v_mul_f32_e32 v43, v10, v5
	;; [unrolled: 1-line block ×3, first 2 shown]
	v_dual_mul_f32 v44, v10, v8 :: v_dual_sub_f32 v3, v25, v3
	v_mul_f32_e32 v58, v9, v20
	v_mul_f32_e32 v46, v10, v20
	v_fma_f32 v5, v9, v5, -v42
	s_delay_alu instid0(VALU_DEP_4)
	v_fma_f32 v7, v9, v7, -v44
	v_sub_f32_e32 v4, v26, v41
	v_dual_fmac_f32 v58, v10, v19 :: v_dual_fmac_f32 v45, v9, v8
	v_fmac_f32_e32 v43, v9, v6
	v_fma_f32 v8, v9, v19, -v46
	v_sub_f32_e32 v5, v23, v5
	s_delay_alu instid0(VALU_DEP_4) | instskip(NEXT) | instid1(VALU_DEP_3)
	v_dual_sub_f32 v19, v21, v7 :: v_dual_sub_f32 v20, v22, v45
	v_dual_sub_f32 v6, v24, v43 :: v_dual_sub_f32 v21, v27, v8
	v_sub_f32_e32 v22, v28, v58
	v_fma_f32 v7, v11, 2.0, -v1
	v_fma_f32 v8, v12, 2.0, -v2
	;; [unrolled: 1-line block ×10, first 2 shown]
	ds_store_2addr_b64 v29, v[7:8], v[1:2] offset1:18
	ds_store_2addr_b64 v30, v[9:10], v[3:4] offset1:18
	ds_store_2addr_b64 v31, v[11:12], v[5:6] offset1:18
	ds_store_2addr_b64 v32, v[25:26], v[19:20] offset1:18
	ds_store_2addr_b64 v33, v[23:24], v[21:22] offset1:18
	global_wb scope:SCOPE_SE
	s_wait_dscnt 0x0
	s_barrier_signal -1
	s_barrier_wait -1
	global_inv scope:SCOPE_SE
	ds_load_b64 v[33:34], v55
	ds_load_b64 v[45:46], v55 offset:2880
	ds_load_b64 v[43:44], v55 offset:5760
	;; [unrolled: 1-line block ×6, first 2 shown]
                                        ; implicit-def: $vgpr26
                                        ; implicit-def: $vgpr32
                                        ; implicit-def: $vgpr28
                                        ; implicit-def: $vgpr30
	s_and_saveexec_b32 s5, vcc_lo
	s_cbranch_execz .LBB0_28
; %bb.27:
	v_add_nc_u32_e32 v1, 0x2800, v55
	ds_load_b64 v[23:24], v55 offset:4896
	ds_load_b64 v[21:22], v55 offset:7776
	;; [unrolled: 1-line block ×4, first 2 shown]
	ds_load_2addr_b32 v[29:30], v1 offset0:104 offset1:105
	ds_load_b64 v[19:20], v56
	ds_load_b64 v[31:32], v55 offset:19296
.LBB0_28:
	s_wait_alu 0xfffe
	s_or_b32 exec_lo, exec_lo, s5
	v_and_b32_e32 v58, 3, v17
	v_lshrrev_b32_e32 v59, 2, v17
	s_delay_alu instid0(VALU_DEP_2) | instskip(NEXT) | instid1(VALU_DEP_2)
	v_mul_u32_u24_e32 v1, 6, v58
	v_mul_u32_u24_e32 v59, 28, v59
	s_delay_alu instid0(VALU_DEP_2)
	v_lshlrev_b32_e32 v9, 3, v1
	s_clause 0x2
	global_load_b128 v[5:8], v9, s[8:9] offset:16
	global_load_b128 v[1:4], v9, s[8:9] offset:32
	;; [unrolled: 1-line block ×3, first 2 shown]
	global_wb scope:SCOPE_SE
	s_wait_loadcnt_dscnt 0x0
	s_barrier_signal -1
	s_barrier_wait -1
	global_inv scope:SCOPE_SE
	v_mul_f32_e32 v60, v6, v46
	v_dual_mul_f32 v61, v6, v45 :: v_dual_mul_f32 v62, v8, v44
	v_dual_mul_f32 v68, v10, v36 :: v_dual_mul_f32 v71, v12, v41
	;; [unrolled: 1-line block ×3, first 2 shown]
	v_mul_f32_e32 v67, v4, v37
	v_dual_mul_f32 v65, v2, v39 :: v_dual_mul_f32 v66, v4, v38
	v_dual_mul_f32 v69, v10, v35 :: v_dual_mul_f32 v70, v12, v42
	v_fma_f32 v45, v5, v45, -v60
	v_fma_f32 v43, v7, v43, -v62
	v_fmac_f32_e32 v71, v11, v42
	v_fma_f32 v35, v9, v35, -v68
	v_fmac_f32_e32 v61, v5, v46
	v_fma_f32 v39, v1, v39, -v64
	v_fma_f32 v37, v3, v37, -v66
	v_fmac_f32_e32 v67, v3, v38
	v_dual_fmac_f32 v69, v9, v36 :: v_dual_add_f32 v42, v43, v35
	v_dual_fmac_f32 v63, v7, v44 :: v_dual_add_f32 v38, v61, v71
	v_fmac_f32_e32 v65, v1, v40
	v_fma_f32 v40, v11, v41, -v70
	v_or_b32_e32 v59, v59, v58
	s_delay_alu instid0(VALU_DEP_2) | instskip(SKIP_2) | instid1(VALU_DEP_3)
	v_add_f32_e32 v36, v45, v40
	v_dual_sub_f32 v40, v45, v40 :: v_dual_add_f32 v45, v39, v37
	v_sub_f32_e32 v41, v61, v71
	v_dual_sub_f32 v35, v43, v35 :: v_dual_sub_f32 v62, v42, v36
	v_add_f32_e32 v60, v42, v36
	s_delay_alu instid0(VALU_DEP_4) | instskip(SKIP_2) | instid1(VALU_DEP_3)
	v_sub_f32_e32 v36, v36, v45
	v_add_f32_e32 v44, v63, v69
	v_dual_sub_f32 v43, v63, v69 :: v_dual_add_f32 v46, v65, v67
	v_dual_sub_f32 v37, v37, v39 :: v_dual_mul_f32 v36, 0x3f4a47b2, v36
	s_delay_alu instid0(VALU_DEP_3) | instskip(SKIP_1) | instid1(VALU_DEP_4)
	v_add_f32_e32 v61, v44, v38
	v_sub_f32_e32 v63, v44, v38
	v_dual_sub_f32 v38, v38, v46 :: v_dual_sub_f32 v39, v67, v65
	v_sub_f32_e32 v42, v45, v42
	v_sub_f32_e32 v44, v46, v44
	v_add_f32_e32 v64, v37, v35
	v_sub_f32_e32 v66, v37, v35
	v_dual_add_f32 v65, v39, v43 :: v_dual_add_f32 v46, v46, v61
	v_sub_f32_e32 v67, v39, v43
	v_dual_sub_f32 v39, v41, v39 :: v_dual_mul_f32 v38, 0x3f4a47b2, v38
	v_sub_f32_e32 v35, v35, v40
	v_add_f32_e32 v45, v45, v60
	v_sub_f32_e32 v37, v40, v37
	v_dual_sub_f32 v43, v43, v41 :: v_dual_add_f32 v40, v64, v40
	v_dual_mul_f32 v64, 0xbf08b237, v66 :: v_dual_add_f32 v41, v65, v41
	v_add_f32_e32 v34, v46, v34
	v_dual_mul_f32 v60, 0x3d64c772, v42 :: v_dual_mul_f32 v61, 0x3d64c772, v44
	v_fmamk_f32 v42, v42, 0x3d64c772, v36
	v_dual_mul_f32 v66, 0x3f5ff5aa, v35 :: v_dual_add_f32 v33, v45, v33
	v_fmamk_f32 v44, v44, 0x3d64c772, v38
	v_mul_f32_e32 v65, 0xbf08b237, v67
	v_fma_f32 v60, 0x3f3bfb3b, v62, -v60
	v_fma_f32 v61, 0x3f3bfb3b, v63, -v61
	;; [unrolled: 1-line block ×4, first 2 shown]
	v_mul_f32_e32 v67, 0x3f5ff5aa, v43
	v_dual_fmamk_f32 v62, v37, 0x3eae86e6, v64 :: v_dual_fmamk_f32 v63, v39, 0x3eae86e6, v65
	v_fma_f32 v43, 0x3f5ff5aa, v43, -v65
	v_fma_f32 v65, 0xbeae86e6, v37, -v66
	v_fmamk_f32 v37, v46, 0xbf955555, v34
	v_fma_f32 v64, 0x3f5ff5aa, v35, -v64
	v_dual_fmac_f32 v62, 0x3ee1c552, v40 :: v_dual_fmac_f32 v63, 0x3ee1c552, v41
	v_fma_f32 v66, 0xbeae86e6, v39, -v67
	s_delay_alu instid0(VALU_DEP_4) | instskip(SKIP_2) | instid1(VALU_DEP_4)
	v_dual_add_f32 v46, v44, v37 :: v_dual_fmamk_f32 v35, v45, 0xbf955555, v33
	v_mul_u32_u24_e32 v59, 0x48, v59
	v_dual_fmac_f32 v64, 0x3ee1c552, v40 :: v_dual_fmac_f32 v43, 0x3ee1c552, v41
	v_dual_fmac_f32 v65, 0x3ee1c552, v40 :: v_dual_fmac_f32 v66, 0x3ee1c552, v41
	s_delay_alu instid0(VALU_DEP_4) | instskip(SKIP_4) | instid1(VALU_DEP_3)
	v_add_f32_e32 v44, v36, v35
	v_sub_f32_e32 v36, v46, v62
	v_dual_add_f32 v45, v42, v35 :: v_dual_add_f32 v42, v61, v37
	v_dual_add_f32 v41, v60, v35 :: v_dual_add_f32 v60, v38, v37
	v_add3_u32 v59, 0, v59, v57
	v_dual_add_f32 v35, v63, v45 :: v_dual_add_f32 v40, v64, v42
	s_delay_alu instid0(VALU_DEP_3) | instskip(NEXT) | instid1(VALU_DEP_4)
	v_dual_add_f32 v37, v66, v44 :: v_dual_sub_f32 v38, v60, v65
	v_dual_sub_f32 v42, v42, v64 :: v_dual_sub_f32 v39, v41, v43
	v_dual_add_f32 v46, v62, v46 :: v_dual_add_f32 v41, v43, v41
	v_dual_sub_f32 v43, v44, v66 :: v_dual_add_f32 v44, v65, v60
	v_sub_f32_e32 v45, v45, v63
	ds_store_2addr_b64 v59, v[33:34], v[35:36] offset1:36
	ds_store_2addr_b64 v59, v[37:38], v[39:40] offset0:72 offset1:108
	ds_store_2addr_b64 v59, v[41:42], v[43:44] offset0:144 offset1:180
	ds_store_b64 v59, v[45:46] offset:1728
	s_and_saveexec_b32 s5, vcc_lo
	s_cbranch_execz .LBB0_30
; %bb.29:
	v_mul_f32_e32 v33, v26, v4
	v_mul_f32_e32 v34, v30, v2
	;; [unrolled: 1-line block ×6, first 2 shown]
	v_fma_f32 v33, v25, v3, -v33
	v_fma_f32 v35, v23, v5, -v35
	v_mul_f32_e32 v23, v28, v10
	s_delay_alu instid0(VALU_DEP_4) | instskip(SKIP_3) | instid1(VALU_DEP_4)
	v_dual_fmac_f32 v6, v24, v5 :: v_dual_mul_f32 v5, v29, v2
	v_fma_f32 v31, v31, v11, -v36
	v_dual_fmac_f32 v12, v32, v11 :: v_dual_mul_f32 v11, v25, v4
	v_fma_f32 v34, v29, v1, -v34
	v_fmac_f32_e32 v5, v30, v1
	v_dual_mul_f32 v37, v22, v8 :: v_dual_mul_f32 v10, v27, v10
	s_delay_alu instid0(VALU_DEP_3) | instskip(SKIP_1) | instid1(VALU_DEP_3)
	v_dual_fmac_f32 v11, v26, v3 :: v_dual_sub_f32 v36, v33, v34
	v_mul_f32_e32 v8, v21, v8
	v_fma_f32 v37, v21, v7, -v37
	v_fma_f32 v4, v27, v9, -v23
	v_fmac_f32_e32 v10, v28, v9
	s_delay_alu instid0(VALU_DEP_2)
	v_dual_add_f32 v28, v35, v31 :: v_dual_add_f32 v29, v37, v4
	v_sub_f32_e32 v9, v37, v4
	v_add_f32_e32 v3, v6, v12
	v_add_f32_e32 v1, v5, v11
	v_fmac_f32_e32 v8, v22, v7
	v_add_f32_e32 v30, v34, v33
	v_dual_sub_f32 v22, v36, v9 :: v_dual_sub_f32 v21, v35, v31
	s_delay_alu instid0(VALU_DEP_4) | instskip(SKIP_1) | instid1(VALU_DEP_3)
	v_sub_f32_e32 v23, v3, v1
	v_add_f32_e32 v26, v36, v9
	v_dual_sub_f32 v5, v11, v5 :: v_dual_mul_f32 v22, 0xbf08b237, v22
	s_delay_alu instid0(VALU_DEP_4) | instskip(NEXT) | instid1(VALU_DEP_4)
	v_dual_add_f32 v7, v8, v10 :: v_dual_sub_f32 v24, v21, v36
	v_mul_f32_e32 v23, 0x3f4a47b2, v23
	s_delay_alu instid0(VALU_DEP_2) | instskip(SKIP_1) | instid1(VALU_DEP_2)
	v_dual_sub_f32 v9, v9, v21 :: v_dual_add_f32 v2, v7, v3
	v_sub_f32_e32 v3, v7, v3
	v_add_f32_e32 v25, v1, v2
	s_delay_alu instid0(VALU_DEP_1) | instskip(SKIP_1) | instid1(VALU_DEP_2)
	v_dual_sub_f32 v1, v1, v7 :: v_dual_add_f32 v2, v20, v25
	v_fmamk_f32 v20, v24, 0x3eae86e6, v22
	v_dual_add_f32 v26, v26, v21 :: v_dual_fmamk_f32 v27, v1, 0x3d64c772, v23
	s_delay_alu instid0(VALU_DEP_3) | instskip(NEXT) | instid1(VALU_DEP_1)
	v_fmamk_f32 v25, v25, 0xbf955555, v2
	v_dual_fmac_f32 v20, 0x3ee1c552, v26 :: v_dual_add_f32 v27, v27, v25
	v_mul_f32_e32 v31, 0x3d64c772, v1
	v_dual_add_f32 v1, v29, v28 :: v_dual_sub_f32 v32, v28, v30
	v_sub_f32_e32 v8, v8, v10
	s_delay_alu instid0(VALU_DEP_4) | instskip(NEXT) | instid1(VALU_DEP_3)
	v_add_f32_e32 v4, v20, v27
	v_dual_sub_f32 v20, v27, v20 :: v_dual_add_f32 v11, v30, v1
	v_sub_f32_e32 v10, v30, v29
	s_delay_alu instid0(VALU_DEP_2) | instskip(SKIP_1) | instid1(VALU_DEP_3)
	v_dual_mul_f32 v30, 0x3f4a47b2, v32 :: v_dual_add_f32 v1, v19, v11
	v_sub_f32_e32 v6, v6, v12
	v_mul_f32_e32 v32, 0x3d64c772, v10
	s_delay_alu instid0(VALU_DEP_3) | instskip(NEXT) | instid1(VALU_DEP_4)
	v_fmamk_f32 v10, v10, 0x3d64c772, v30
	v_dual_fmamk_f32 v11, v11, 0xbf955555, v1 :: v_dual_sub_f32 v12, v5, v8
	s_delay_alu instid0(VALU_DEP_4)
	v_sub_f32_e32 v19, v6, v5
	v_add_f32_e32 v5, v5, v8
	v_sub_f32_e32 v7, v8, v6
	v_mul_f32_e32 v21, 0x3f5ff5aa, v9
	v_mul_f32_e32 v12, 0xbf08b237, v12
	v_fma_f32 v8, 0xbf3bfb3b, v3, -v23
	v_dual_sub_f32 v23, v29, v28 :: v_dual_add_f32 v28, v10, v11
	v_add_f32_e32 v5, v5, v6
	s_delay_alu instid0(VALU_DEP_4)
	v_fmamk_f32 v33, v19, 0x3eae86e6, v12
	v_mul_f32_e32 v6, 0x3f5ff5aa, v7
	v_fma_f32 v21, 0xbeae86e6, v24, -v21
	v_add_f32_e32 v24, v8, v25
	v_fma_f32 v8, 0xbf3bfb3b, v23, -v30
	v_fma_f32 v3, 0x3f3bfb3b, v3, -v31
	;; [unrolled: 1-line block ×4, first 2 shown]
	s_delay_alu instid0(VALU_DEP_4) | instskip(SKIP_2) | instid1(VALU_DEP_4)
	v_dual_fmac_f32 v21, 0x3ee1c552, v26 :: v_dual_add_f32 v30, v8, v11
	v_lshrrev_b32_e32 v8, 2, v47
	v_fma_f32 v29, 0xbeae86e6, v19, -v6
	v_add_f32_e32 v22, v10, v11
	v_fma_f32 v7, 0x3f5ff5aa, v7, -v12
	v_add_f32_e32 v3, v3, v25
	v_mul_u32_u24_e32 v8, 28, v8
	v_fmac_f32_e32 v9, 0x3ee1c552, v26
	v_dual_fmac_f32 v33, 0x3ee1c552, v5 :: v_dual_add_f32 v6, v21, v24
	v_fmac_f32_e32 v29, 0x3ee1c552, v5
	s_delay_alu instid0(VALU_DEP_4) | instskip(NEXT) | instid1(VALU_DEP_4)
	v_or_b32_e32 v12, v8, v58
	v_dual_add_f32 v10, v9, v3 :: v_dual_fmac_f32 v7, 0x3ee1c552, v5
	s_delay_alu instid0(VALU_DEP_4) | instskip(NEXT) | instid1(VALU_DEP_3)
	v_dual_sub_f32 v8, v3, v9 :: v_dual_add_f32 v19, v33, v28
	v_mul_u32_u24_e32 v3, 0x48, v12
	s_delay_alu instid0(VALU_DEP_3) | instskip(SKIP_2) | instid1(VALU_DEP_4)
	v_dual_sub_f32 v12, v24, v21 :: v_dual_sub_f32 v9, v22, v7
	v_add_f32_e32 v11, v29, v30
	v_sub_f32_e32 v5, v30, v29
	v_add3_u32 v21, 0, v3, v57
	v_add_f32_e32 v7, v7, v22
	v_sub_f32_e32 v3, v28, v33
	ds_store_2addr_b64 v21, v[1:2], v[19:20] offset1:36
	ds_store_2addr_b64 v21, v[11:12], v[9:10] offset0:72 offset1:108
	ds_store_2addr_b64 v21, v[7:8], v[5:6] offset0:144 offset1:180
	ds_store_b64 v21, v[3:4] offset:1728
.LBB0_30:
	s_wait_alu 0xfffe
	s_or_b32 exec_lo, exec_lo, s5
	v_mul_lo_u16 v1, v17, 37
	v_mul_lo_u16 v2, v47, 37
	global_wb scope:SCOPE_SE
	s_wait_dscnt 0x0
	s_barrier_signal -1
	s_barrier_wait -1
	v_lshrrev_b16 v1, 10, v1
	v_lshrrev_b16 v12, 10, v2
	global_inv scope:SCOPE_SE
	v_mul_lo_u16 v3, v1, 28
	s_delay_alu instid0(VALU_DEP_1) | instskip(SKIP_1) | instid1(VALU_DEP_2)
	v_sub_nc_u16 v2, v17, v3
	v_mul_lo_u16 v3, v12, 28
	v_and_b32_e32 v31, 0xff, v2
	s_delay_alu instid0(VALU_DEP_2) | instskip(NEXT) | instid1(VALU_DEP_2)
	v_sub_nc_u16 v2, v47, v3
	v_lshlrev_b32_e32 v3, 5, v31
	global_load_b128 v[4:7], v3, s[8:9] offset:208
	v_and_b32_e32 v32, 0xff, v2
	s_delay_alu instid0(VALU_DEP_1)
	v_lshlrev_b32_e32 v2, 5, v32
	s_clause 0x2
	global_load_b128 v[8:11], v3, s[8:9] offset:224
	global_load_b128 v[19:22], v2, s[8:9] offset:208
	global_load_b128 v[23:26], v2, s[8:9] offset:224
	v_add_nc_u32_e32 v2, 0x2760, v55
	ds_load_b64 v[35:36], v53
	ds_load_b64 v[37:38], v15
	ds_load_2addr_b64 v[27:30], v2 offset1:252
	v_and_b32_e32 v1, 0xffff, v1
	v_and_b32_e32 v12, 0xffff, v12
	v_add_nc_u32_e32 v3, 0x3720, v55
	s_delay_alu instid0(VALU_DEP_3) | instskip(NEXT) | instid1(VALU_DEP_1)
	v_mad_u32_u24 v1, 0x8c, v1, v31
	v_mul_u32_u24_e32 v1, 0x48, v1
	s_delay_alu instid0(VALU_DEP_1)
	v_add3_u32 v1, 0, v1, v57
	s_wait_loadcnt_dscnt 0x302
	v_mul_f32_e32 v59, v5, v36
	s_wait_dscnt 0x1
	v_dual_mul_f32 v5, v5, v35 :: v_dual_mul_f32 v60, v7, v38
	v_mul_f32_e32 v7, v7, v37
	s_delay_alu instid0(VALU_DEP_3)
	v_fma_f32 v35, v4, v35, -v59
	s_wait_loadcnt_dscnt 0x200
	v_mul_f32_e32 v61, v9, v30
	s_wait_loadcnt 0x1
	v_mul_f32_e32 v64, v28, v22
	v_mad_u32_u24 v12, 0x8c, v12, v32
	ds_load_2addr_b64 v[31:34], v3 offset1:252
	ds_load_b64 v[39:40], v55
	ds_load_b64 v[41:42], v55 offset:6048
	ds_load_b64 v[43:44], v56
	ds_load_b64 v[45:46], v55 offset:18144
	global_wb scope:SCOPE_SE
	s_wait_loadcnt_dscnt 0x0
	s_barrier_signal -1
	v_mul_u32_u24_e32 v12, 0x48, v12
	s_barrier_wait -1
	v_mul_f32_e32 v22, v27, v22
	v_fmac_f32_e32 v7, v6, v38
	global_inv scope:SCOPE_SE
	v_add3_u32 v12, 0, v12, v57
	v_add_nc_u32_e32 v57, 0xfc0, v1
	v_mul_f32_e32 v9, v9, v29
	v_fma_f32 v29, v8, v29, -v61
	v_fmac_f32_e32 v22, v28, v21
	v_add_nc_u32_e32 v58, 0xfc0, v12
	v_mul_f32_e32 v62, v11, v34
	v_mul_f32_e32 v63, v11, v33
	;; [unrolled: 1-line block ×7, first 2 shown]
	v_dual_mul_f32 v26, v45, v26 :: v_dual_fmac_f32 v5, v4, v36
	v_fmac_f32_e32 v20, v19, v42
	v_fma_f32 v4, v6, v37, -v60
	s_delay_alu instid0(VALU_DEP_3)
	v_dual_fmac_f32 v9, v8, v30 :: v_dual_fmac_f32 v26, v46, v25
	v_fma_f32 v30, v10, v33, -v62
	v_dual_fmac_f32 v63, v10, v34 :: v_dual_fmac_f32 v24, v32, v23
	v_fma_f32 v6, v19, v41, -v11
	v_fma_f32 v8, v27, v21, -v64
	;; [unrolled: 1-line block ×4, first 2 shown]
	v_dual_add_f32 v10, v39, v35 :: v_dual_add_f32 v11, v4, v29
	v_dual_add_f32 v31, v35, v30 :: v_dual_add_f32 v34, v40, v5
	v_dual_sub_f32 v33, v29, v30 :: v_dual_add_f32 v36, v7, v9
	v_dual_sub_f32 v21, v35, v4 :: v_dual_sub_f32 v32, v4, v35
	v_dual_sub_f32 v35, v35, v30 :: v_dual_add_f32 v42, v5, v63
	v_dual_sub_f32 v23, v30, v29 :: v_dual_sub_f32 v38, v5, v7
	v_dual_sub_f32 v41, v63, v9 :: v_dual_add_f32 v60, v8, v19
	v_dual_add_f32 v59, v43, v6 :: v_dual_sub_f32 v64, v6, v8
	v_dual_sub_f32 v61, v20, v26 :: v_dual_add_f32 v66, v6, v27
	v_dual_sub_f32 v65, v27, v19 :: v_dual_add_f32 v70, v22, v24
	v_add_f32_e32 v69, v44, v20
	v_add_f32_e32 v75, v20, v26
	v_dual_sub_f32 v25, v5, v63 :: v_dual_sub_f32 v28, v7, v9
	v_dual_sub_f32 v37, v4, v29 :: v_dual_sub_f32 v46, v9, v63
	;; [unrolled: 1-line block ×4, first 2 shown]
	v_dual_add_f32 v10, v10, v4 :: v_dual_add_f32 v77, v21, v23
	v_fma_f32 v4, -0.5, v11, v39
	v_dual_add_f32 v11, v34, v7 :: v_dual_add_f32 v34, v64, v65
	v_fma_f32 v5, -0.5, v36, v40
	v_fma_f32 v39, -0.5, v31, v39
	v_dual_add_f32 v31, v32, v33 :: v_dual_fmac_f32 v40, -0.5, v42
	v_dual_sub_f32 v71, v6, v27 :: v_dual_sub_f32 v76, v24, v26
	v_dual_sub_f32 v73, v20, v22 :: v_dual_sub_f32 v74, v26, v24
	v_sub_f32_e32 v20, v22, v20
	v_dual_add_f32 v32, v38, v41 :: v_dual_add_f32 v21, v59, v8
	v_add_f32_e32 v22, v69, v22
	v_fma_f32 v6, -0.5, v60, v43
	v_fma_f32 v43, -0.5, v66, v43
	v_fma_f32 v7, -0.5, v70, v44
	v_dual_sub_f32 v72, v8, v19 :: v_dual_add_f32 v33, v45, v46
	v_fmac_f32_e32 v44, -0.5, v75
	v_dual_add_f32 v36, v67, v68 :: v_dual_add_f32 v23, v10, v29
	v_dual_fmamk_f32 v8, v25, 0x3f737871, v4 :: v_dual_add_f32 v29, v11, v9
	v_dual_fmac_f32 v4, 0xbf737871, v25 :: v_dual_fmamk_f32 v9, v35, 0xbf737871, v5
	v_dual_fmamk_f32 v10, v28, 0xbf737871, v39 :: v_dual_add_f32 v45, v22, v24
	v_fmac_f32_e32 v39, 0x3f737871, v28
	v_fmamk_f32 v11, v37, 0x3f737871, v40
	v_fmac_f32_e32 v40, 0xbf737871, v37
	v_dual_fmac_f32 v5, 0x3f737871, v35 :: v_dual_fmamk_f32 v22, v72, 0x3f737871, v44
	v_dual_add_f32 v38, v73, v74 :: v_dual_add_f32 v41, v20, v76
	v_add_f32_e32 v42, v21, v19
	v_fmamk_f32 v19, v61, 0x3f737871, v6
	v_fmamk_f32 v21, v62, 0xbf737871, v43
	v_fmac_f32_e32 v43, 0x3f737871, v62
	v_fmamk_f32 v20, v71, 0xbf737871, v7
	v_dual_fmac_f32 v7, 0x3f737871, v71 :: v_dual_add_f32 v26, v45, v26
	v_fmac_f32_e32 v44, 0xbf737871, v72
	v_dual_fmac_f32 v6, 0xbf737871, v61 :: v_dual_add_f32 v23, v23, v30
	v_dual_fmac_f32 v8, 0x3f167918, v28 :: v_dual_fmac_f32 v5, 0x3f167918, v37
	v_dual_fmac_f32 v4, 0xbf167918, v28 :: v_dual_fmac_f32 v39, 0xbf167918, v25
	v_dual_add_f32 v24, v29, v63 :: v_dual_fmac_f32 v9, 0xbf167918, v37
	v_dual_fmac_f32 v10, 0x3f167918, v25 :: v_dual_fmac_f32 v19, 0x3f167918, v62
	v_dual_fmac_f32 v11, 0xbf167918, v35 :: v_dual_fmac_f32 v6, 0xbf167918, v62
	;; [unrolled: 1-line block ×3, first 2 shown]
	v_add_f32_e32 v25, v42, v27
	v_dual_fmac_f32 v43, 0xbf167918, v61 :: v_dual_fmac_f32 v20, 0xbf167918, v72
	v_dual_fmac_f32 v7, 0x3f167918, v72 :: v_dual_fmac_f32 v44, 0x3f167918, v71
	v_fmac_f32_e32 v22, 0xbf167918, v71
	v_dual_fmac_f32 v8, 0x3e9e377a, v77 :: v_dual_fmac_f32 v39, 0x3e9e377a, v31
	v_dual_fmac_f32 v4, 0x3e9e377a, v77 :: v_dual_fmac_f32 v9, 0x3e9e377a, v32
	;; [unrolled: 1-line block ×8, first 2 shown]
	ds_store_2addr_b64 v1, v[23:24], v[8:9] offset1:252
	ds_store_2addr_b64 v57, v[10:11], v[39:40] offset1:252
	ds_store_b64 v1, v[4:5] offset:8064
	ds_store_2addr_b64 v12, v[25:26], v[19:20] offset1:252
	ds_store_2addr_b64 v58, v[21:22], v[43:44] offset1:252
	ds_store_b64 v12, v[6:7] offset:8064
	global_wb scope:SCOPE_SE
	s_wait_dscnt 0x0
	s_barrier_signal -1
	s_barrier_wait -1
	global_inv scope:SCOPE_SE
	s_and_saveexec_b32 s5, s7
	s_cbranch_execz .LBB0_32
; %bb.31:
	v_subrev_nc_u32_e32 v4, 56, v17
	v_cmp_gt_u32_e32 vcc_lo, 0x1f8, v0
	v_dual_mov_b32 v1, 0 :: v_dual_add_nc_u32 v8, 0xffffff90, v17
	v_add_nc_u32_e32 v5, 0xffffffac, v17
	s_load_b64 s[0:1], s[0:1], 0x8
	s_delay_alu instid0(VALU_DEP_2) | instskip(SKIP_4) | instid1(VALU_DEP_2)
	v_dual_cndmask_b32 v11, v4, v49 :: v_dual_mov_b32 v20, v1
	v_cmp_gt_u32_e32 vcc_lo, 0x2f4, v0
	v_dual_mov_b32 v12, v1 :: v_dual_mov_b32 v23, v1
	s_wait_alu 0xfffd
	v_cndmask_b32_e32 v19, v5, v48, vcc_lo
	v_lshlrev_b64_e32 v[4:5], 3, v[11:12]
	v_mul_lo_u32 v12, v18, v50
	s_delay_alu instid0(VALU_DEP_3) | instskip(NEXT) | instid1(VALU_DEP_3)
	v_lshlrev_b64_e32 v[6:7], 3, v[19:20]
	v_add_co_u32 v4, vcc_lo, s8, v4
	s_wait_alu 0xfffd
	s_delay_alu instid0(VALU_DEP_4) | instskip(NEXT) | instid1(VALU_DEP_3)
	v_add_co_ci_u32_e32 v5, vcc_lo, s9, v5, vcc_lo
	v_add_co_u32 v6, vcc_lo, s8, v6
	s_wait_alu 0xfffd
	v_add_co_ci_u32_e32 v7, vcc_lo, s9, v7, vcc_lo
	v_cmp_gt_u32_e32 vcc_lo, 0x3f0, v0
	global_load_b64 v[20:21], v[4:5], off offset:1104
	v_lshrrev_b32_e32 v9, 5, v12
	global_load_b64 v[24:25], v[6:7], off offset:1104
	v_lshlrev_b32_e32 v6, 3, v50
	s_wait_alu 0xfffd
	v_cndmask_b32_e32 v22, v8, v47, vcc_lo
	v_mul_lo_u32 v7, v18, v52
	v_and_b32_e32 v8, 0xff, v12
	v_mul_lo_u32 v46, v18, v19
	global_load_b64 v[26:27], v6, s[8:9] offset:1104
	v_lshlrev_b64_e32 v[4:5], 3, v[22:23]
	v_subrev_nc_u32_e32 v6, 28, v17
	v_mul_lo_u32 v23, v18, v11
	v_mul_lo_u32 v50, v18, v22
	v_add_nc_u32_e32 v78, 0x8c, v22
	v_add_co_u32 v4, vcc_lo, s8, v4
	s_wait_alu 0xfffd
	v_add_co_ci_u32_e32 v5, vcc_lo, s9, v5, vcc_lo
	v_cmp_gt_u32_e32 vcc_lo, 0xfc, v0
	v_lshrrev_b32_e32 v81, 13, v23
	global_load_b64 v[28:29], v[4:5], off offset:1104
	v_and_b32_e32 v4, 0xff, v7
	v_lshrrev_b32_e32 v5, 5, v7
	s_wait_alu 0xfffd
	v_cndmask_b32_e32 v0, v6, v51, vcc_lo
	v_lshlrev_b32_e32 v6, 3, v8
	v_and_b32_e32 v8, 0x7f8, v9
	v_lshlrev_b32_e32 v4, 3, v4
	v_and_b32_e32 v5, 0x7f8, v5
	s_wait_kmcnt 0x0
	s_clause 0x1
	global_load_b64 v[30:31], v4, s[0:1]
	global_load_b64 v[32:33], v5, s[0:1] offset:2048
	v_lshlrev_b64_e32 v[4:5], 3, v[0:1]
	s_clause 0x1
	global_load_b64 v[34:35], v6, s[0:1]
	global_load_b64 v[36:37], v8, s[0:1] offset:2048
	v_mul_lo_u32 v17, v18, v0
	v_and_b32_e32 v8, 0xff, v46
	v_lshrrev_b32_e32 v9, 5, v46
	v_lshrrev_b32_e32 v46, 13, v46
	v_add_co_u32 v4, vcc_lo, s8, v4
	s_wait_alu 0xfffd
	v_add_co_ci_u32_e32 v5, vcc_lo, s9, v5, vcc_lo
	v_and_b32_e32 v6, 0xff, v17
	global_load_b64 v[38:39], v[4:5], off offset:1104
	v_lshrrev_b32_e32 v4, 5, v17
	v_lshlrev_b32_e32 v5, 3, v6
	v_add_nc_u32_e32 v6, 0x8c, v0
	v_lshrrev_b32_e32 v17, 13, v17
	v_sub_nc_u32_e32 v0, v51, v0
	v_and_b32_e32 v4, 0x7f8, v4
	s_clause 0x1
	global_load_b64 v[40:41], v5, s[0:1]
	global_load_b64 v[42:43], v4, s[0:1] offset:2048
	v_and_b32_e32 v4, 0xff, v23
	v_lshrrev_b32_e32 v5, 5, v23
	v_mul_lo_u32 v52, v18, v6
	v_and_b32_e32 v6, 0xff, v50
	s_delay_alu instid0(VALU_DEP_4) | instskip(NEXT) | instid1(VALU_DEP_4)
	v_lshlrev_b32_e32 v4, 3, v4
	v_and_b32_e32 v5, 0x7f8, v5
	s_clause 0x1
	global_load_b64 v[44:45], v4, s[0:1]
	global_load_b64 v[57:58], v5, s[0:1] offset:2048
	v_lshlrev_b32_e32 v4, 3, v8
	v_and_b32_e32 v5, 0x7f8, v9
	v_lshrrev_b32_e32 v8, 5, v50
	s_clause 0x1
	global_load_b64 v[59:60], v4, s[0:1]
	global_load_b64 v[61:62], v5, s[0:1] offset:2048
	v_lshlrev_b32_e32 v4, 3, v6
	v_and_b32_e32 v6, 0xff, v52
	v_and_b32_e32 v5, 0x7f8, v8
	v_lshrrev_b32_e32 v8, 5, v52
	s_clause 0x1
	global_load_b64 v[63:64], v4, s[0:1]
	global_load_b64 v[65:66], v5, s[0:1] offset:2048
	v_lshlrev_b32_e32 v4, 3, v6
	v_lshrrev_b32_e32 v6, 13, v7
	v_and_b32_e32 v5, 0x7f8, v8
	v_and_b32_e32 v17, 0x7f8, v17
	s_wait_loadcnt 0xb
	s_delay_alu instid0(VALU_DEP_3)
	v_dual_mul_f32 v90, v30, v33 :: v_dual_and_b32 v7, 0x7f8, v6
	s_clause 0x1
	global_load_b64 v[67:68], v4, s[0:1]
	global_load_b64 v[69:70], v5, s[0:1] offset:2048
	ds_load_2addr_b64 v[3:6], v3 offset1:252
	v_dual_fmac_f32 v90, v31, v32 :: v_dual_add_nc_u32 v77, 0x8c, v19
	s_delay_alu instid0(VALU_DEP_1)
	v_mul_lo_u32 v80, v18, v77
	s_wait_dscnt 0x0
	v_mul_f32_e32 v82, v21, v5
	global_load_b64 v[71:72], v7, s[0:1] offset:4096
	ds_load_2addr_b64 v[7:10], v2 offset1:252
	ds_load_b64 v[73:74], v56
	ds_load_b32 v79, v56
	ds_load_b64 v[75:76], v55 offset:18144
	ds_load_b64 v[55:56], v55
	v_lshrrev_b32_e32 v2, 13, v12
	v_dual_mul_f32 v21, v21, v6 :: v_dual_add_nc_u32 v12, 0x8c, v11
	v_mul_f32_e32 v83, v25, v3
	v_dual_mul_f32 v25, v25, v4 :: v_dual_fmac_f32 v82, v20, v6
	s_delay_alu instid0(VALU_DEP_3)
	v_mul_lo_u32 v12, v18, v12
	v_mul_lo_u32 v18, v18, v78
	v_lshrrev_b32_e32 v6, 5, v80
	v_fma_f32 v84, v20, v5, -v21
	v_and_b32_e32 v5, 0xff, v80
	v_fma_f32 v85, v24, v3, -v25
	v_fmac_f32_e32 v83, v24, v4
	v_lshrrev_b32_e32 v23, 5, v12
	v_lshrrev_b32_e32 v4, 5, v18
	s_wait_dscnt 0x4
	v_dual_mul_f32 v86, v27, v7 :: v_dual_mul_f32 v87, v29, v9
	s_wait_loadcnt_dscnt 0xb01
	v_dual_mul_f32 v92, v39, v75 :: v_dual_and_b32 v3, 0xff, v18
	v_and_b32_e32 v20, 0x7f8, v23
	v_and_b32_e32 v23, 0x7f8, v6
	v_mul_f32_e32 v6, v29, v10
	s_delay_alu instid0(VALU_DEP_4) | instskip(SKIP_2) | instid1(VALU_DEP_4)
	v_dual_fmac_f32 v92, v38, v76 :: v_dual_lshlrev_b32 v21, 3, v5
	v_and_b32_e32 v25, 0x7f8, v4
	v_fmac_f32_e32 v86, v26, v8
	v_fma_f32 v89, v28, v9, -v6
	v_dual_mul_f32 v3, v27, v8 :: v_dual_lshlrev_b32 v24, 3, v3
	v_and_b32_e32 v29, 0x7f8, v46
	v_fmac_f32_e32 v87, v28, v10
	s_delay_alu instid0(VALU_DEP_4)
	v_sub_f32_e32 v73, v73, v89
	v_lshrrev_b32_e32 v10, 13, v50
	v_fma_f32 v88, v26, v7, -v3
	v_and_b32_e32 v2, 0x7f8, v2
	v_and_b32_e32 v27, 0x7f8, v81
	v_mul_f32_e32 v81, v34, v37
	v_fma_f32 v79, v79, 2.0, -v73
	global_load_b64 v[77:78], v2, s[0:1] offset:4096
	v_and_b32_e32 v2, 0xff, v12
	v_lshrrev_b32_e32 v12, 13, v12
	s_delay_alu instid0(VALU_DEP_2)
	v_dual_fmac_f32 v81, v36, v35 :: v_dual_lshlrev_b32 v2, 3, v2
	s_clause 0x5
	global_load_b64 v[2:3], v2, s[0:1]
	global_load_b64 v[4:5], v20, s[0:1] offset:2048
	global_load_b64 v[6:7], v21, s[0:1]
	global_load_b64 v[8:9], v23, s[0:1] offset:2048
	;; [unrolled: 2-line block ×3, first 2 shown]
	v_mul_f32_e32 v25, v31, v33
	v_lshrrev_b32_e32 v33, 13, v52
	global_load_b64 v[27:28], v27, s[0:1] offset:4096
	v_add_nc_u32_e32 v94, v0, v51
	v_fma_f32 v52, v30, v32, -v25
	s_clause 0x1
	global_load_b64 v[25:26], v17, s[0:1] offset:4096
	global_load_b64 v[29:30], v29, s[0:1] offset:4096
	v_mul_f32_e32 v17, v35, v37
	v_and_b32_e32 v33, 0x7f8, v33
	s_delay_alu instid0(VALU_DEP_2)
	v_fma_f32 v91, v34, v36, -v17
	v_dual_mul_f32 v17, v39, v76 :: v_dual_and_b32 v10, 0x7f8, v10
	global_load_b64 v[33:34], v33, s[0:1] offset:4096
	s_wait_loadcnt 0x14
	v_mul_f32_e32 v76, v40, v43
	v_fma_f32 v75, v38, v75, -v17
	v_and_b32_e32 v12, 0x7f8, v12
	global_load_b64 v[31:32], v10, s[0:1] offset:4096
	v_lshrrev_b32_e32 v17, 13, v18
	v_mul_f32_e32 v18, v41, v43
	v_fmac_f32_e32 v76, v41, v42
	global_load_b64 v[35:36], v12, s[0:1] offset:4096
	v_lshrrev_b32_e32 v10, 13, v80
	v_and_b32_e32 v12, 0x7f8, v17
	v_fma_f32 v80, v40, v42, -v18
	v_sub_nc_u32_e32 v18, v48, v19
	v_sub_nc_u32_e32 v19, v49, v11
	v_and_b32_e32 v10, 0x7f8, v10
	s_clause 0x1
	global_load_b64 v[37:38], v10, s[0:1] offset:4096
	global_load_b64 v[39:40], v12, s[0:1] offset:4096
	ds_load_b64 v[41:42], v15
	ds_load_b32 v93, v15
	v_sub_nc_u32_e32 v12, v47, v22
	ds_load_b32 v22, v54
	ds_load_b64 v[10:11], v53
	v_add_nc_u32_e32 v46, v18, v48
	v_add_nc_u32_e32 v0, s6, v13
	s_wait_loadcnt 0x16
	v_dual_mul_f32 v12, v45, v58 :: v_dual_add_nc_u32 v43, v12, v47
	v_dual_mul_f32 v58, v44, v58 :: v_dual_add_nc_u32 v47, v19, v49
	ds_load_b64 v[18:19], v54
	ds_load_b32 v53, v53
	v_mov_b32_e32 v17, v1
	v_fma_f32 v54, v44, v57, -v12
	v_fmac_f32_e32 v58, v45, v57
	s_wait_loadcnt 0x14
	v_mul_f32_e32 v44, v60, v62
	v_mul_f32_e32 v57, v59, v62
	v_mov_b32_e32 v15, v1
	v_lshlrev_b64_e32 v[16:17], 3, v[16:17]
	s_delay_alu instid0(VALU_DEP_4)
	v_fma_f32 v59, v59, v61, -v44
	s_wait_loadcnt 0x12
	v_dual_fmac_f32 v57, v60, v61 :: v_dual_mul_f32 v60, v63, v66
	v_add_nc_u32_e32 v48, 0x8c, v43
	s_wait_dscnt 0x5
	v_sub_f32_e32 v41, v41, v75
	s_wait_dscnt 0x2
	v_sub_f32_e32 v75, v11, v83
	v_lshlrev_b64_e32 v[14:15], 3, v[14:15]
	v_add_co_u32 v16, vcc_lo, s2, v16
	s_wait_alu 0xfffd
	v_add_co_ci_u32_e32 v17, vcc_lo, s3, v17, vcc_lo
	v_fma_f32 v11, v11, 2.0, -v75
	s_delay_alu instid0(VALU_DEP_4)
	v_add_co_u32 v14, vcc_lo, s2, v14
	s_wait_alu 0xfffd
	v_add_co_ci_u32_e32 v15, vcc_lo, s3, v15, vcc_lo
	v_fmac_f32_e32 v60, v64, v65
	s_wait_loadcnt 0x6
	v_mul_f32_e32 v83, v76, v26
	v_mad_co_u64_u32 v[12:13], null, s4, v43, v[0:1]
	v_mad_co_u64_u32 v[43:44], null, s4, v46, v[0:1]
	v_mul_f32_e32 v13, v64, v66
	v_mul_f32_e32 v44, v68, v70
	v_dual_mul_f32 v62, v67, v70 :: v_dual_add_nc_u32 v51, 0x8c, v47
	s_delay_alu instid0(VALU_DEP_3) | instskip(NEXT) | instid1(VALU_DEP_3)
	v_fma_f32 v61, v63, v65, -v13
	v_fma_f32 v63, v67, v69, -v44
	s_delay_alu instid0(VALU_DEP_3) | instskip(SKIP_3) | instid1(VALU_DEP_3)
	v_fmac_f32_e32 v62, v68, v69
	v_dual_mul_f32 v67, v52, v72 :: v_dual_mul_f32 v68, v78, v81
	v_dual_mul_f32 v69, v78, v91 :: v_dual_sub_f32 v64, v56, v86
	v_sub_f32_e32 v65, v55, v88
	v_dual_fmac_f32 v67, v71, v90 :: v_dual_mul_f32 v66, v90, v72
	s_wait_dscnt 0x1
	v_sub_f32_e32 v72, v18, v84
	v_fma_f32 v18, v77, v91, -v68
	v_fmac_f32_e32 v69, v77, v81
	v_add_nc_u32_e32 v49, 0x8c, v46
	v_mul_f32_e32 v77, v21, v24
	v_mul_f32_e32 v24, v20, v24
	;; [unrolled: 1-line block ×3, first 2 shown]
	v_mov_b32_e32 v44, v1
	v_fma_f32 v55, v55, 2.0, -v65
	v_mad_co_u64_u32 v[45:46], null, s4, v47, v[0:1]
	v_fmac_f32_e32 v24, v21, v23
	s_wait_loadcnt 0x3
	v_dual_mul_f32 v21, v61, v32 :: v_dual_sub_f32 v78, v10, v85
	v_mul_f32_e32 v10, v3, v5
	v_mul_f32_e32 v5, v7, v9
	v_mul_f32_e32 v9, v6, v9
	v_fma_f32 v56, v56, 2.0, -v64
	v_mad_co_u64_u32 v[47:48], null, s4, v48, v[0:1]
	v_fma_f32 v10, v2, v4, -v10
	v_mul_f32_e32 v2, v58, v28
	v_mul_f32_e32 v28, v54, v28
	v_fma_f32 v84, v6, v8, -v5
	v_fmac_f32_e32 v9, v7, v8
	v_dual_mul_f32 v7, v59, v30 :: v_dual_sub_f32 v70, v42, v92
	v_fma_f32 v54, v27, v54, -v2
	v_fmac_f32_e32 v28, v27, v58
	s_wait_loadcnt 0x1
	v_mul_f32_e32 v27, v9, v38
	v_dual_fmac_f32 v7, v29, v57 :: v_dual_mul_f32 v38, v84, v38
	v_dual_mov_b32 v46, v1 :: v_dual_mul_f32 v5, v55, v69
	v_mov_b32_e32 v48, v1
	v_fma_f32 v20, v20, v23, -v77
	v_mul_f32_e32 v23, v56, v69
	v_dual_fmac_f32 v38, v37, v9 :: v_dual_mul_f32 v9, v11, v7
	v_dual_fmac_f32 v68, v3, v4 :: v_dual_mul_f32 v3, v65, v67
	v_fma_f32 v66, v71, v52, -v66
	v_mul_f32_e32 v6, v60, v32
	v_mul_f32_e32 v32, v63, v34
	v_mul_f32_e32 v8, v64, v67
	v_mad_co_u64_u32 v[51:52], null, s4, v51, v[0:1]
	v_fmac_f32_e32 v3, v64, v66
	v_mul_f32_e32 v4, v57, v30
	v_dual_mov_b32 v52, v1 :: v_dual_sub_f32 v71, v19, v82
	v_dual_sub_f32 v82, v74, v87 :: v_dual_fmac_f32 v5, v56, v18
	v_mul_f32_e32 v30, v62, v34
	s_delay_alu instid0(VALU_DEP_4)
	v_fma_f32 v58, v29, v59, -v4
	s_wait_loadcnt 0x0
	v_mul_f32_e32 v29, v24, v40
	v_mul_f32_e32 v40, v20, v40
	v_fma_f32 v4, v55, v18, -v23
	v_fmac_f32_e32 v32, v33, v62
	v_fma_f32 v2, v65, v66, -v8
	v_fma_f32 v23, v33, v63, -v30
	v_fmac_f32_e32 v40, v39, v24
	v_mul_f32_e32 v26, v80, v26
	s_clause 0x1
	global_store_b64 v[16:17], v[4:5], off
	global_store_b64 v[14:15], v[2:3], off
	v_mul_f32_e32 v3, v41, v32
	v_mov_b32_e32 v13, v1
	v_mad_co_u64_u32 v[49:50], null, s4, v49, v[0:1]
	v_fma_f32 v19, v19, 2.0, -v71
	v_fma_f32 v22, v22, 2.0, -v72
	v_fma_f32 v34, v25, v80, -v83
	v_fmac_f32_e32 v26, v25, v76
	v_fmac_f32_e32 v21, v31, v60
	s_wait_dscnt 0x0
	v_fma_f32 v53, v53, 2.0, -v78
	v_dual_fmac_f32 v3, v70, v23 :: v_dual_mov_b32 v50, v1
	v_mul_f32_e32 v25, v68, v36
	v_lshlrev_b64_e32 v[12:13], 3, v[12:13]
	v_mul_f32_e32 v36, v10, v36
	v_lshlrev_b64_e32 v[43:44], 3, v[43:44]
	v_fma_f32 v74, v74, 2.0, -v82
	v_fma_f32 v25, v35, v10, -v25
	v_mul_f32_e32 v8, v22, v28
	v_mul_f32_e32 v28, v19, v28
	;; [unrolled: 1-line block ×3, first 2 shown]
	v_lshlrev_b64_e32 v[47:48], 3, v[47:48]
	v_add_co_u32 v12, vcc_lo, s2, v12
	v_fmac_f32_e32 v36, v35, v68
	s_wait_alu 0xfffd
	v_add_co_ci_u32_e32 v13, vcc_lo, s3, v13, vcc_lo
	v_fma_f32 v57, v31, v61, -v6
	v_mul_f32_e32 v18, v79, v21
	v_mul_f32_e32 v21, v74, v21
	v_add_co_u32 v43, vcc_lo, s2, v43
	v_fma_f32 v29, v39, v20, -v29
	v_fma_f32 v7, v22, v54, -v28
	v_fmac_f32_e32 v10, v11, v58
	v_mul_f32_e32 v22, v73, v40
	v_mul_f32_e32 v11, v82, v40
	s_wait_alu 0xfffd
	v_add_co_ci_u32_e32 v44, vcc_lo, s3, v44, vcc_lo
	v_mul_f32_e32 v4, v71, v36
	v_add_co_u32 v47, vcc_lo, s2, v47
	v_fmac_f32_e32 v18, v74, v57
	v_fma_f32 v17, v79, v57, -v21
	s_wait_alu 0xfffd
	v_add_co_ci_u32_e32 v48, vcc_lo, s3, v48, vcc_lo
	v_fmac_f32_e32 v22, v82, v29
	v_fma_f32 v21, v73, v29, -v11
	v_lshlrev_b64_e32 v[49:50], 3, v[49:50]
	v_fma_f32 v9, v53, v58, -v9
	v_fma_f32 v27, v37, v84, -v27
	v_mul_f32_e32 v2, v70, v32
	v_mul_f32_e32 v16, v75, v38
	v_fma_f32 v14, v72, v25, -v4
	v_add_nc_u32_e32 v4, 0x8c, v94
	s_clause 0x2
	global_store_b64 v[12:13], v[17:18], off
	global_store_b64 v[47:48], v[21:22], off
	;; [unrolled: 1-line block ×3, first 2 shown]
	v_lshlrev_b64_e32 v[11:12], 3, v[45:46]
	v_mad_co_u64_u32 v[21:22], null, s4, v94, v[0:1]
	v_fmac_f32_e32 v8, v19, v54
	v_fma_f32 v2, v41, v23, -v2
	v_fma_f32 v19, v78, v27, -v16
	v_add_co_u32 v9, vcc_lo, s2, v49
	v_lshlrev_b64_e32 v[16:17], 3, v[51:52]
	v_mov_b32_e32 v22, v1
	v_mad_co_u64_u32 v[23:24], null, s4, v4, v[0:1]
	s_wait_alu 0xfffd
	v_add_co_ci_u32_e32 v10, vcc_lo, s3, v50, vcc_lo
	v_add_co_u32 v11, vcc_lo, s2, v11
	v_mov_b32_e32 v24, v1
	v_fma_f32 v42, v42, 2.0, -v70
	v_fma_f32 v81, v93, 2.0, -v41
	s_wait_alu 0xfffd
	v_add_co_ci_u32_e32 v12, vcc_lo, s3, v12, vcc_lo
	v_lshlrev_b64_e32 v[21:22], 3, v[21:22]
	v_add_co_u32 v0, vcc_lo, s2, v16
	v_mul_f32_e32 v20, v78, v38
	s_wait_alu 0xfffd
	v_add_co_ci_u32_e32 v1, vcc_lo, s3, v17, vcc_lo
	v_lshlrev_b64_e32 v[16:17], 3, v[23:24]
	v_dual_mul_f32 v15, v72, v36 :: v_dual_mul_f32 v6, v81, v26
	v_mul_f32_e32 v26, v42, v26
	v_add_co_u32 v21, vcc_lo, s2, v21
	v_fmac_f32_e32 v20, v75, v27
	s_wait_alu 0xfffd
	v_add_co_ci_u32_e32 v22, vcc_lo, s3, v22, vcc_lo
	v_fmac_f32_e32 v15, v71, v25
	v_add_co_u32 v16, vcc_lo, s2, v16
	v_fmac_f32_e32 v6, v42, v34
	v_fma_f32 v5, v81, v34, -v26
	s_wait_alu 0xfffd
	v_add_co_ci_u32_e32 v17, vcc_lo, s3, v17, vcc_lo
	s_clause 0x4
	global_store_b64 v[9:10], v[19:20], off
	global_store_b64 v[11:12], v[7:8], off
	;; [unrolled: 1-line block ×5, first 2 shown]
.LBB0_32:
	s_nop 0
	s_sendmsg sendmsg(MSG_DEALLOC_VGPRS)
	s_endpgm
	.section	.rodata,"a",@progbits
	.p2align	6, 0x0
	.amdhsa_kernel fft_rtc_fwd_len280_factors_2_2_7_5_2_wgs_252_tpt_28_dim3_sp_ip_CI_sbcc_twdbase8_3step_dirReg_intrinsicReadWrite
		.amdhsa_group_segment_fixed_size 0
		.amdhsa_private_segment_fixed_size 0
		.amdhsa_kernarg_size 88
		.amdhsa_user_sgpr_count 2
		.amdhsa_user_sgpr_dispatch_ptr 0
		.amdhsa_user_sgpr_queue_ptr 0
		.amdhsa_user_sgpr_kernarg_segment_ptr 1
		.amdhsa_user_sgpr_dispatch_id 0
		.amdhsa_user_sgpr_private_segment_size 0
		.amdhsa_wavefront_size32 1
		.amdhsa_uses_dynamic_stack 0
		.amdhsa_enable_private_segment 0
		.amdhsa_system_sgpr_workgroup_id_x 1
		.amdhsa_system_sgpr_workgroup_id_y 0
		.amdhsa_system_sgpr_workgroup_id_z 0
		.amdhsa_system_sgpr_workgroup_info 0
		.amdhsa_system_vgpr_workitem_id 0
		.amdhsa_next_free_vgpr 95
		.amdhsa_next_free_sgpr 27
		.amdhsa_reserve_vcc 1
		.amdhsa_float_round_mode_32 0
		.amdhsa_float_round_mode_16_64 0
		.amdhsa_float_denorm_mode_32 3
		.amdhsa_float_denorm_mode_16_64 3
		.amdhsa_fp16_overflow 0
		.amdhsa_workgroup_processor_mode 1
		.amdhsa_memory_ordered 1
		.amdhsa_forward_progress 0
		.amdhsa_round_robin_scheduling 0
		.amdhsa_exception_fp_ieee_invalid_op 0
		.amdhsa_exception_fp_denorm_src 0
		.amdhsa_exception_fp_ieee_div_zero 0
		.amdhsa_exception_fp_ieee_overflow 0
		.amdhsa_exception_fp_ieee_underflow 0
		.amdhsa_exception_fp_ieee_inexact 0
		.amdhsa_exception_int_div_zero 0
	.end_amdhsa_kernel
	.text
.Lfunc_end0:
	.size	fft_rtc_fwd_len280_factors_2_2_7_5_2_wgs_252_tpt_28_dim3_sp_ip_CI_sbcc_twdbase8_3step_dirReg_intrinsicReadWrite, .Lfunc_end0-fft_rtc_fwd_len280_factors_2_2_7_5_2_wgs_252_tpt_28_dim3_sp_ip_CI_sbcc_twdbase8_3step_dirReg_intrinsicReadWrite
                                        ; -- End function
	.section	.AMDGPU.csdata,"",@progbits
; Kernel info:
; codeLenInByte = 8624
; NumSgprs: 29
; NumVgprs: 95
; ScratchSize: 0
; MemoryBound: 0
; FloatMode: 240
; IeeeMode: 1
; LDSByteSize: 0 bytes/workgroup (compile time only)
; SGPRBlocks: 3
; VGPRBlocks: 11
; NumSGPRsForWavesPerEU: 29
; NumVGPRsForWavesPerEU: 95
; Occupancy: 16
; WaveLimiterHint : 1
; COMPUTE_PGM_RSRC2:SCRATCH_EN: 0
; COMPUTE_PGM_RSRC2:USER_SGPR: 2
; COMPUTE_PGM_RSRC2:TRAP_HANDLER: 0
; COMPUTE_PGM_RSRC2:TGID_X_EN: 1
; COMPUTE_PGM_RSRC2:TGID_Y_EN: 0
; COMPUTE_PGM_RSRC2:TGID_Z_EN: 0
; COMPUTE_PGM_RSRC2:TIDIG_COMP_CNT: 0
	.text
	.p2alignl 7, 3214868480
	.fill 96, 4, 3214868480
	.type	__hip_cuid_330350b0bc567cf3,@object ; @__hip_cuid_330350b0bc567cf3
	.section	.bss,"aw",@nobits
	.globl	__hip_cuid_330350b0bc567cf3
__hip_cuid_330350b0bc567cf3:
	.byte	0                               ; 0x0
	.size	__hip_cuid_330350b0bc567cf3, 1

	.ident	"AMD clang version 19.0.0git (https://github.com/RadeonOpenCompute/llvm-project roc-6.4.0 25133 c7fe45cf4b819c5991fe208aaa96edf142730f1d)"
	.section	".note.GNU-stack","",@progbits
	.addrsig
	.addrsig_sym __hip_cuid_330350b0bc567cf3
	.amdgpu_metadata
---
amdhsa.kernels:
  - .args:
      - .actual_access:  read_only
        .address_space:  global
        .offset:         0
        .size:           8
        .value_kind:     global_buffer
      - .address_space:  global
        .offset:         8
        .size:           8
        .value_kind:     global_buffer
      - .actual_access:  read_only
        .address_space:  global
        .offset:         16
        .size:           8
        .value_kind:     global_buffer
      - .actual_access:  read_only
        .address_space:  global
        .offset:         24
        .size:           8
        .value_kind:     global_buffer
      - .offset:         32
        .size:           8
        .value_kind:     by_value
      - .actual_access:  read_only
        .address_space:  global
        .offset:         40
        .size:           8
        .value_kind:     global_buffer
      - .actual_access:  read_only
        .address_space:  global
        .offset:         48
        .size:           8
        .value_kind:     global_buffer
      - .offset:         56
        .size:           4
        .value_kind:     by_value
      - .actual_access:  read_only
        .address_space:  global
        .offset:         64
        .size:           8
        .value_kind:     global_buffer
      - .actual_access:  read_only
        .address_space:  global
        .offset:         72
        .size:           8
        .value_kind:     global_buffer
      - .address_space:  global
        .offset:         80
        .size:           8
        .value_kind:     global_buffer
    .group_segment_fixed_size: 0
    .kernarg_segment_align: 8
    .kernarg_segment_size: 88
    .language:       OpenCL C
    .language_version:
      - 2
      - 0
    .max_flat_workgroup_size: 252
    .name:           fft_rtc_fwd_len280_factors_2_2_7_5_2_wgs_252_tpt_28_dim3_sp_ip_CI_sbcc_twdbase8_3step_dirReg_intrinsicReadWrite
    .private_segment_fixed_size: 0
    .sgpr_count:     29
    .sgpr_spill_count: 0
    .symbol:         fft_rtc_fwd_len280_factors_2_2_7_5_2_wgs_252_tpt_28_dim3_sp_ip_CI_sbcc_twdbase8_3step_dirReg_intrinsicReadWrite.kd
    .uniform_work_group_size: 1
    .uses_dynamic_stack: false
    .vgpr_count:     95
    .vgpr_spill_count: 0
    .wavefront_size: 32
    .workgroup_processor_mode: 1
amdhsa.target:   amdgcn-amd-amdhsa--gfx1201
amdhsa.version:
  - 1
  - 2
...

	.end_amdgpu_metadata
